;; amdgpu-corpus repo=ROCm/rocFFT kind=compiled arch=gfx1030 opt=O3
	.text
	.amdgcn_target "amdgcn-amd-amdhsa--gfx1030"
	.amdhsa_code_object_version 6
	.protected	fft_rtc_fwd_len990_factors_2_3_3_5_11_wgs_110_tpt_110_half_op_CI_CI_unitstride_sbrr_R2C_dirReg ; -- Begin function fft_rtc_fwd_len990_factors_2_3_3_5_11_wgs_110_tpt_110_half_op_CI_CI_unitstride_sbrr_R2C_dirReg
	.globl	fft_rtc_fwd_len990_factors_2_3_3_5_11_wgs_110_tpt_110_half_op_CI_CI_unitstride_sbrr_R2C_dirReg
	.p2align	8
	.type	fft_rtc_fwd_len990_factors_2_3_3_5_11_wgs_110_tpt_110_half_op_CI_CI_unitstride_sbrr_R2C_dirReg,@function
fft_rtc_fwd_len990_factors_2_3_3_5_11_wgs_110_tpt_110_half_op_CI_CI_unitstride_sbrr_R2C_dirReg: ; @fft_rtc_fwd_len990_factors_2_3_3_5_11_wgs_110_tpt_110_half_op_CI_CI_unitstride_sbrr_R2C_dirReg
; %bb.0:
	s_clause 0x2
	s_load_dwordx4 s[12:15], s[4:5], 0x0
	s_load_dwordx4 s[8:11], s[4:5], 0x58
	;; [unrolled: 1-line block ×3, first 2 shown]
	v_mul_u32_u24_e32 v1, 0x254, v0
	v_mov_b32_e32 v3, 0
	v_add_nc_u32_sdwa v5, s6, v1 dst_sel:DWORD dst_unused:UNUSED_PAD src0_sel:DWORD src1_sel:WORD_1
	v_mov_b32_e32 v1, 0
	v_mov_b32_e32 v6, v3
	v_mov_b32_e32 v2, 0
	s_waitcnt lgkmcnt(0)
	v_cmp_lt_u64_e64 s0, s[14:15], 2
	s_and_b32 vcc_lo, exec_lo, s0
	s_cbranch_vccnz .LBB0_8
; %bb.1:
	s_load_dwordx2 s[0:1], s[4:5], 0x10
	v_mov_b32_e32 v1, 0
	v_mov_b32_e32 v2, 0
	s_add_u32 s2, s18, 8
	s_addc_u32 s3, s19, 0
	s_add_u32 s6, s16, 8
	s_addc_u32 s7, s17, 0
	v_mov_b32_e32 v9, v2
	v_mov_b32_e32 v8, v1
	s_mov_b64 s[22:23], 1
	s_waitcnt lgkmcnt(0)
	s_add_u32 s20, s0, 8
	s_addc_u32 s21, s1, 0
.LBB0_2:                                ; =>This Inner Loop Header: Depth=1
	s_load_dwordx2 s[24:25], s[20:21], 0x0
                                        ; implicit-def: $vgpr12_vgpr13
	s_mov_b32 s0, exec_lo
	s_waitcnt lgkmcnt(0)
	v_or_b32_e32 v4, s25, v6
	v_cmpx_ne_u64_e32 0, v[3:4]
	s_xor_b32 s1, exec_lo, s0
	s_cbranch_execz .LBB0_4
; %bb.3:                                ;   in Loop: Header=BB0_2 Depth=1
	v_cvt_f32_u32_e32 v4, s24
	v_cvt_f32_u32_e32 v7, s25
	s_sub_u32 s0, 0, s24
	s_subb_u32 s26, 0, s25
	v_fmac_f32_e32 v4, 0x4f800000, v7
	v_rcp_f32_e32 v4, v4
	v_mul_f32_e32 v4, 0x5f7ffffc, v4
	v_mul_f32_e32 v7, 0x2f800000, v4
	v_trunc_f32_e32 v7, v7
	v_fmac_f32_e32 v4, 0xcf800000, v7
	v_cvt_u32_f32_e32 v7, v7
	v_cvt_u32_f32_e32 v4, v4
	v_mul_lo_u32 v10, s0, v7
	v_mul_hi_u32 v11, s0, v4
	v_mul_lo_u32 v12, s26, v4
	v_add_nc_u32_e32 v10, v11, v10
	v_mul_lo_u32 v11, s0, v4
	v_add_nc_u32_e32 v10, v10, v12
	v_mul_hi_u32 v12, v4, v11
	v_mul_lo_u32 v13, v4, v10
	v_mul_hi_u32 v14, v4, v10
	v_mul_hi_u32 v15, v7, v11
	v_mul_lo_u32 v11, v7, v11
	v_mul_hi_u32 v16, v7, v10
	v_mul_lo_u32 v10, v7, v10
	v_add_co_u32 v12, vcc_lo, v12, v13
	v_add_co_ci_u32_e32 v13, vcc_lo, 0, v14, vcc_lo
	v_add_co_u32 v11, vcc_lo, v12, v11
	v_add_co_ci_u32_e32 v11, vcc_lo, v13, v15, vcc_lo
	v_add_co_ci_u32_e32 v12, vcc_lo, 0, v16, vcc_lo
	v_add_co_u32 v10, vcc_lo, v11, v10
	v_add_co_ci_u32_e32 v11, vcc_lo, 0, v12, vcc_lo
	v_add_co_u32 v4, vcc_lo, v4, v10
	v_add_co_ci_u32_e32 v7, vcc_lo, v7, v11, vcc_lo
	v_mul_hi_u32 v10, s0, v4
	v_mul_lo_u32 v12, s26, v4
	v_mul_lo_u32 v11, s0, v7
	v_add_nc_u32_e32 v10, v10, v11
	v_mul_lo_u32 v11, s0, v4
	v_add_nc_u32_e32 v10, v10, v12
	v_mul_hi_u32 v12, v4, v11
	v_mul_lo_u32 v13, v4, v10
	v_mul_hi_u32 v14, v4, v10
	v_mul_hi_u32 v15, v7, v11
	v_mul_lo_u32 v11, v7, v11
	v_mul_hi_u32 v16, v7, v10
	v_mul_lo_u32 v10, v7, v10
	v_add_co_u32 v12, vcc_lo, v12, v13
	v_add_co_ci_u32_e32 v13, vcc_lo, 0, v14, vcc_lo
	v_add_co_u32 v11, vcc_lo, v12, v11
	v_add_co_ci_u32_e32 v11, vcc_lo, v13, v15, vcc_lo
	v_add_co_ci_u32_e32 v12, vcc_lo, 0, v16, vcc_lo
	v_add_co_u32 v10, vcc_lo, v11, v10
	v_add_co_ci_u32_e32 v11, vcc_lo, 0, v12, vcc_lo
	v_add_co_u32 v4, vcc_lo, v4, v10
	v_add_co_ci_u32_e32 v7, vcc_lo, v7, v11, vcc_lo
	v_mul_hi_u32 v16, v5, v4
	v_mad_u64_u32 v[12:13], null, v6, v4, 0
	v_mad_u64_u32 v[10:11], null, v5, v7, 0
	;; [unrolled: 1-line block ×3, first 2 shown]
	v_add_co_u32 v4, vcc_lo, v16, v10
	v_add_co_ci_u32_e32 v7, vcc_lo, 0, v11, vcc_lo
	v_add_co_u32 v4, vcc_lo, v4, v12
	v_add_co_ci_u32_e32 v4, vcc_lo, v7, v13, vcc_lo
	v_add_co_ci_u32_e32 v7, vcc_lo, 0, v15, vcc_lo
	v_add_co_u32 v4, vcc_lo, v4, v14
	v_add_co_ci_u32_e32 v7, vcc_lo, 0, v7, vcc_lo
	v_mul_lo_u32 v12, s25, v4
	v_mad_u64_u32 v[10:11], null, s24, v4, 0
	v_mul_lo_u32 v13, s24, v7
	v_sub_co_u32 v10, vcc_lo, v5, v10
	v_add3_u32 v11, v11, v13, v12
	v_sub_nc_u32_e32 v12, v6, v11
	v_subrev_co_ci_u32_e64 v12, s0, s25, v12, vcc_lo
	v_add_co_u32 v13, s0, v4, 2
	v_add_co_ci_u32_e64 v14, s0, 0, v7, s0
	v_sub_co_u32 v15, s0, v10, s24
	v_sub_co_ci_u32_e32 v11, vcc_lo, v6, v11, vcc_lo
	v_subrev_co_ci_u32_e64 v12, s0, 0, v12, s0
	v_cmp_le_u32_e32 vcc_lo, s24, v15
	v_cmp_eq_u32_e64 s0, s25, v11
	v_cndmask_b32_e64 v15, 0, -1, vcc_lo
	v_cmp_le_u32_e32 vcc_lo, s25, v12
	v_cndmask_b32_e64 v16, 0, -1, vcc_lo
	v_cmp_le_u32_e32 vcc_lo, s24, v10
	;; [unrolled: 2-line block ×3, first 2 shown]
	v_cndmask_b32_e64 v17, 0, -1, vcc_lo
	v_cmp_eq_u32_e32 vcc_lo, s25, v12
	v_cndmask_b32_e64 v10, v17, v10, s0
	v_cndmask_b32_e32 v12, v16, v15, vcc_lo
	v_add_co_u32 v15, vcc_lo, v4, 1
	v_add_co_ci_u32_e32 v16, vcc_lo, 0, v7, vcc_lo
	v_cmp_ne_u32_e32 vcc_lo, 0, v12
	v_cndmask_b32_e32 v11, v16, v14, vcc_lo
	v_cndmask_b32_e32 v12, v15, v13, vcc_lo
	v_cmp_ne_u32_e32 vcc_lo, 0, v10
	v_cndmask_b32_e32 v13, v7, v11, vcc_lo
	v_cndmask_b32_e32 v12, v4, v12, vcc_lo
.LBB0_4:                                ;   in Loop: Header=BB0_2 Depth=1
	s_andn2_saveexec_b32 s0, s1
	s_cbranch_execz .LBB0_6
; %bb.5:                                ;   in Loop: Header=BB0_2 Depth=1
	v_cvt_f32_u32_e32 v4, s24
	s_sub_i32 s1, 0, s24
	v_mov_b32_e32 v13, v3
	v_rcp_iflag_f32_e32 v4, v4
	v_mul_f32_e32 v4, 0x4f7ffffe, v4
	v_cvt_u32_f32_e32 v4, v4
	v_mul_lo_u32 v7, s1, v4
	v_mul_hi_u32 v7, v4, v7
	v_add_nc_u32_e32 v4, v4, v7
	v_mul_hi_u32 v4, v5, v4
	v_mul_lo_u32 v7, v4, s24
	v_add_nc_u32_e32 v10, 1, v4
	v_sub_nc_u32_e32 v7, v5, v7
	v_subrev_nc_u32_e32 v11, s24, v7
	v_cmp_le_u32_e32 vcc_lo, s24, v7
	v_cndmask_b32_e32 v7, v7, v11, vcc_lo
	v_cndmask_b32_e32 v4, v4, v10, vcc_lo
	v_cmp_le_u32_e32 vcc_lo, s24, v7
	v_add_nc_u32_e32 v10, 1, v4
	v_cndmask_b32_e32 v12, v4, v10, vcc_lo
.LBB0_6:                                ;   in Loop: Header=BB0_2 Depth=1
	s_or_b32 exec_lo, exec_lo, s0
	v_mul_lo_u32 v4, v13, s24
	v_mul_lo_u32 v7, v12, s25
	s_load_dwordx2 s[0:1], s[6:7], 0x0
	v_mad_u64_u32 v[10:11], null, v12, s24, 0
	s_load_dwordx2 s[24:25], s[2:3], 0x0
	s_add_u32 s22, s22, 1
	s_addc_u32 s23, s23, 0
	s_add_u32 s2, s2, 8
	s_addc_u32 s3, s3, 0
	s_add_u32 s6, s6, 8
	v_add3_u32 v4, v11, v7, v4
	v_sub_co_u32 v5, vcc_lo, v5, v10
	s_addc_u32 s7, s7, 0
	s_add_u32 s20, s20, 8
	v_sub_co_ci_u32_e32 v4, vcc_lo, v6, v4, vcc_lo
	s_addc_u32 s21, s21, 0
	s_waitcnt lgkmcnt(0)
	v_mul_lo_u32 v6, s0, v4
	v_mul_lo_u32 v7, s1, v5
	v_mad_u64_u32 v[1:2], null, s0, v5, v[1:2]
	v_mul_lo_u32 v4, s24, v4
	v_mul_lo_u32 v10, s25, v5
	v_mad_u64_u32 v[8:9], null, s24, v5, v[8:9]
	v_cmp_ge_u64_e64 s0, s[22:23], s[14:15]
	v_add3_u32 v2, v7, v2, v6
	v_add3_u32 v9, v10, v9, v4
	s_and_b32 vcc_lo, exec_lo, s0
	s_cbranch_vccnz .LBB0_9
; %bb.7:                                ;   in Loop: Header=BB0_2 Depth=1
	v_mov_b32_e32 v5, v12
	v_mov_b32_e32 v6, v13
	s_branch .LBB0_2
.LBB0_8:
	v_mov_b32_e32 v9, v2
	v_mov_b32_e32 v13, v6
	;; [unrolled: 1-line block ×4, first 2 shown]
.LBB0_9:
	s_load_dwordx2 s[0:1], s[4:5], 0x28
	v_mul_hi_u32 v3, 0x253c826, v0
	s_lshl_b64 s[4:5], s[14:15], 3
                                        ; implicit-def: $vgpr10
                                        ; implicit-def: $vgpr14
                                        ; implicit-def: $vgpr17
                                        ; implicit-def: $vgpr16
	s_add_u32 s2, s18, s4
	s_addc_u32 s3, s19, s5
	s_waitcnt lgkmcnt(0)
	v_cmp_gt_u64_e32 vcc_lo, s[0:1], v[12:13]
	v_cmp_le_u64_e64 s0, s[0:1], v[12:13]
	s_and_saveexec_b32 s1, s0
	s_xor_b32 s0, exec_lo, s1
; %bb.10:
	v_mul_u32_u24_e32 v1, 0x6e, v3
                                        ; implicit-def: $vgpr3
	v_sub_nc_u32_e32 v10, v0, v1
                                        ; implicit-def: $vgpr0
                                        ; implicit-def: $vgpr1_vgpr2
	v_add_nc_u32_e32 v14, 0x6e, v10
	v_add_nc_u32_e32 v17, 0xdc, v10
	;; [unrolled: 1-line block ×3, first 2 shown]
; %bb.11:
	s_andn2_saveexec_b32 s1, s0
	s_cbranch_execz .LBB0_13
; %bb.12:
	s_add_u32 s4, s16, s4
	s_addc_u32 s5, s17, s5
	v_lshlrev_b64 v[1:2], 2, v[1:2]
	s_load_dwordx2 s[4:5], s[4:5], 0x0
	s_waitcnt lgkmcnt(0)
	v_mul_lo_u32 v6, s5, v12
	v_mul_lo_u32 v7, s4, v13
	v_mad_u64_u32 v[4:5], null, s4, v12, 0
	v_add3_u32 v5, v5, v7, v6
	v_mul_u32_u24_e32 v6, 0x6e, v3
	v_lshlrev_b64 v[3:4], 2, v[4:5]
	v_sub_nc_u32_e32 v10, v0, v6
	v_add_nc_u32_e32 v14, 0x6e, v10
	v_add_co_u32 v0, s0, s8, v3
	v_add_co_ci_u32_e64 v3, s0, s9, v4, s0
	v_lshlrev_b32_e32 v4, 2, v10
	v_add_co_u32 v0, s0, v0, v1
	v_add_co_ci_u32_e64 v1, s0, v3, v2, s0
	v_add_nc_u32_e32 v17, 0xdc, v10
	v_add_co_u32 v0, s0, v0, v4
	v_add_co_ci_u32_e64 v1, s0, 0, v1, s0
	v_add_nc_u32_e32 v16, 0x14a, v10
	v_add_co_u32 v2, s0, 0x800, v0
	v_add_co_ci_u32_e64 v3, s0, 0, v1, s0
	s_clause 0x8
	global_load_dword v5, v[0:1], off
	global_load_dword v6, v[0:1], off offset:440
	global_load_dword v7, v[0:1], off offset:880
	;; [unrolled: 1-line block ×8, first 2 shown]
	v_add_nc_u32_e32 v3, 0, v4
	v_add_nc_u32_e32 v4, 0x200, v3
	;; [unrolled: 1-line block ×4, first 2 shown]
	s_waitcnt vmcnt(7)
	ds_write2_b32 v3, v5, v6 offset1:110
	s_waitcnt vmcnt(5)
	ds_write2_b32 v4, v7, v11 offset0:92 offset1:202
	s_waitcnt vmcnt(3)
	ds_write2_b32 v19, v0, v1 offset0:56 offset1:166
	;; [unrolled: 2-line block ×3, first 2 shown]
	s_waitcnt vmcnt(0)
	ds_write_b32 v3, v2 offset:3520
.LBB0_13:
	s_or_b32 exec_lo, exec_lo, s1
	v_lshlrev_b32_e32 v11, 2, v10
	s_load_dwordx2 s[2:3], s[2:3], 0x0
	s_waitcnt lgkmcnt(0)
	s_barrier
	buffer_gl0_inv
	v_add_nc_u32_e32 v30, 0, v11
	v_lshl_add_u32 v32, v17, 3, 0
	v_lshl_add_u32 v31, v16, 3, 0
	v_cmp_gt_u32_e64 s0, 55, v10
	v_add_nc_u32_e32 v0, 0x400, v30
	v_add_nc_u32_e32 v4, 0x800, v30
	;; [unrolled: 1-line block ×4, first 2 shown]
	ds_read2_b32 v[2:3], v30 offset1:110
	ds_read2_b32 v[0:1], v0 offset0:184 offset1:239
	ds_read2_b32 v[4:5], v4 offset0:93 offset1:203
	;; [unrolled: 1-line block ×4, first 2 shown]
	v_lshl_add_u32 v6, v14, 3, 0
	v_add_nc_u32_e32 v7, v30, v11
	s_waitcnt lgkmcnt(0)
	s_barrier
	buffer_gl0_inv
	v_pk_add_f16 v15, v2, v1 neg_lo:[0,1] neg_hi:[0,1]
	v_pk_add_f16 v4, v3, v4 neg_lo:[0,1] neg_hi:[0,1]
	;; [unrolled: 1-line block ×5, first 2 shown]
	v_pk_fma_f16 v2, v2, 2.0, v15 op_sel_hi:[1,0,1] neg_lo:[0,0,1] neg_hi:[0,0,1]
	v_pk_fma_f16 v3, v3, 2.0, v4 op_sel_hi:[1,0,1] neg_lo:[0,0,1] neg_hi:[0,0,1]
	;; [unrolled: 1-line block ×4, first 2 shown]
	ds_write2_b32 v7, v2, v15 offset1:1
	ds_write2_b32 v6, v3, v4 offset1:1
	;; [unrolled: 1-line block ×4, first 2 shown]
	s_and_saveexec_b32 s1, s0
	s_cbranch_execz .LBB0_15
; %bb.14:
	v_pk_fma_f16 v0, v0, 2.0, v1 op_sel_hi:[1,0,1] neg_lo:[0,0,1] neg_hi:[0,0,1]
	v_add3_u32 v2, v30, v11, 0xdc0
	ds_write2_b32 v2, v0, v1 offset1:1
.LBB0_15:
	s_or_b32 exec_lo, exec_lo, s1
	v_and_b32_e32 v0, 1, v10
	s_waitcnt lgkmcnt(0)
	s_barrier
	buffer_gl0_inv
	v_lshlrev_b32_e32 v33, 2, v17
	v_lshlrev_b32_e32 v2, 3, v0
	;; [unrolled: 1-line block ×4, first 2 shown]
	v_add_nc_u32_e32 v27, 0xa00, v30
	v_add_nc_u32_e32 v4, 0x600, v30
	global_load_dwordx2 v[2:3], v2, s[12:13]
	v_sub_nc_u32_e32 v36, v32, v33
	v_sub_nc_u32_e32 v35, v6, v7
	v_sub_nc_u32_e32 v34, v31, v15
	ds_read_b32 v5, v30
	v_and_b32_e32 v22, 0xff, v10
	ds_read2_b32 v[20:21], v27 offset0:20 offset1:130
	ds_read2_b32 v[23:24], v4 offset0:56 offset1:166
	ds_read_b32 v39, v36
	ds_read_b32 v40, v35
	;; [unrolled: 1-line block ×3, first 2 shown]
	ds_read_b32 v42, v30 offset:3520
	v_lshrrev_b32_e32 v25, 1, v14
	v_lshrrev_b32_e32 v26, 1, v17
	;; [unrolled: 1-line block ×3, first 2 shown]
	v_mul_lo_u16 v37, 0xab, v22
	v_and_b32_e32 v19, 0xff, v14
	v_mul_lo_u32 v25, v25, 6
	v_mul_lo_u32 v26, v26, 6
	v_mul_u32_u24_e32 v18, 6, v18
	v_lshrrev_b16 v37, 10, v37
	v_mov_b32_e32 v29, 0xaaab
	v_mul_lo_u16 v38, 0xab, v19
	v_mov_b32_e32 v28, 3
	v_or_b32_e32 v18, v18, v0
	v_or_b32_e32 v25, v25, v0
	;; [unrolled: 1-line block ×3, first 2 shown]
	v_mul_lo_u16 v26, v37, 6
	s_waitcnt lgkmcnt(6)
	v_lshrrev_b32_e32 v45, 16, v5
	s_waitcnt lgkmcnt(5)
	v_lshrrev_b32_e32 v48, 16, v21
	;; [unrolled: 2-line block ×4, first 2 shown]
	v_sub_nc_u16 v46, v10, v26
	v_lshrrev_b32_e32 v26, 16, v20
	v_lshrrev_b32_e32 v47, 16, v23
	;; [unrolled: 1-line block ×4, first 2 shown]
	v_mul_u32_u24_sdwa v29, v17, v29 dst_sel:DWORD dst_unused:UNUSED_PAD src0_sel:WORD_0 src1_sel:DWORD
	v_lshrrev_b16 v38, 10, v38
	v_lshl_add_u32 v18, v18, 2, 0
	v_lshlrev_b32_sdwa v49, v28, v46 dst_sel:DWORD dst_unused:UNUSED_PAD src0_sel:DWORD src1_sel:BYTE_0
	v_lshl_add_u32 v25, v25, 2, 0
	v_lshrrev_b32_e32 v29, 18, v29
	v_mul_lo_u16 v43, v38, 6
	v_lshl_add_u32 v0, v0, 2, 0
	s_waitcnt vmcnt(0)
	s_barrier
	v_mul_lo_u16 v44, v29, 6
	v_sub_nc_u16 v43, v14, v43
	buffer_gl0_inv
	v_mul_u32_u24_e32 v29, 0x48, v29
	v_sub_nc_u32_e32 v7, 0, v7
	v_sub_nc_u16 v44, v17, v44
	v_lshlrev_b32_sdwa v50, v28, v43 dst_sel:DWORD dst_unused:UNUSED_PAD src0_sel:DWORD src1_sel:BYTE_0
	v_cmp_gt_u32_e64 s1, 0x58, v10
	v_lshrrev_b32_e32 v55, 16, v2
	v_mul_f16_sdwa v58, v3, v20 dst_sel:DWORD dst_unused:UNUSED_PAD src0_sel:WORD_1 src1_sel:DWORD
	v_mul_f16_sdwa v59, v3, v21 dst_sel:DWORD dst_unused:UNUSED_PAD src0_sel:WORD_1 src1_sel:DWORD
	;; [unrolled: 1-line block ×4, first 2 shown]
	v_mul_f16_sdwa v60, v2, v24 dst_sel:DWORD dst_unused:UNUSED_PAD src0_sel:DWORD src1_sel:WORD_1
	v_mul_f16_sdwa v61, v3, v53 dst_sel:DWORD dst_unused:UNUSED_PAD src0_sel:WORD_1 src1_sel:DWORD
	v_mul_f16_sdwa v62, v3, v42 dst_sel:DWORD dst_unused:UNUSED_PAD src0_sel:WORD_1 src1_sel:DWORD
	v_fmac_f16_e32 v58, v3, v26
	v_mul_f16_e32 v26, v55, v52
	v_fmac_f16_e32 v59, v3, v48
	v_mul_f16_e32 v48, v55, v41
	v_fma_f16 v20, v3, v20, -v56
	v_fma_f16 v21, v3, v21, -v57
	;; [unrolled: 1-line block ×3, first 2 shown]
	v_mul_f16_e32 v56, v55, v47
	v_fmac_f16_e32 v62, v3, v53
	v_mul_f16_e32 v3, v55, v23
	v_fmac_f16_e32 v60, v55, v24
	v_mul_f16_sdwa v53, v55, v24 dst_sel:DWORD dst_unused:UNUSED_PAD src0_sel:DWORD src1_sel:WORD_1
	v_fma_f16 v26, v2, v41, -v26
	v_fmac_f16_e32 v48, v2, v52
	v_fma_f16 v23, v2, v23, -v56
	v_fmac_f16_e32 v3, v2, v47
	v_add_f16_e32 v47, v60, v62
	v_fma_f16 v2, v2, v24, -v53
	v_add_f16_e32 v41, v54, v60
	v_add_f16_e32 v53, v26, v20
	v_sub_f16_e32 v55, v48, v58
	v_add_f16_e32 v56, v45, v48
	v_add_f16_e32 v48, v48, v58
	v_sub_f16_e32 v24, v60, v62
	v_fmac_f16_e32 v54, -0.5, v47
	v_add_f16_e32 v47, v23, v21
	v_sub_f16_e32 v60, v3, v59
	v_add_f16_e32 v61, v51, v3
	v_add_f16_e32 v3, v3, v59
	;; [unrolled: 1-line block ×4, first 2 shown]
	v_sub_f16_e32 v26, v26, v20
	v_add_f16_e32 v41, v41, v62
	v_add_f16_e32 v62, v39, v2
	v_sub_f16_e32 v2, v2, v42
	v_fmac_f16_e32 v5, -0.5, v53
	v_fmac_f16_e32 v45, -0.5, v48
	v_add_f16_e32 v57, v40, v23
	v_sub_f16_e32 v23, v23, v21
	v_fmac_f16_e32 v40, -0.5, v47
	v_fmac_f16_e32 v51, -0.5, v3
	;; [unrolled: 1-line block ×3, first 2 shown]
	v_add_f16_e32 v20, v52, v20
	v_add_f16_e32 v52, v56, v58
	;; [unrolled: 1-line block ×3, first 2 shown]
	v_fmamk_f16 v42, v2, 0xbaee, v54
	v_fmac_f16_e32 v54, 0x3aee, v2
	v_fmamk_f16 v2, v55, 0x3aee, v5
	v_fmamk_f16 v48, v26, 0xbaee, v45
	v_fmac_f16_e32 v5, 0xbaee, v55
	v_fmac_f16_e32 v45, 0x3aee, v26
	v_add_f16_e32 v21, v57, v21
	v_add_f16_e32 v47, v61, v59
	v_fmamk_f16 v26, v60, 0x3aee, v40
	v_fmamk_f16 v53, v23, 0xbaee, v51
	v_fmac_f16_e32 v40, 0xbaee, v60
	v_fmac_f16_e32 v51, 0x3aee, v23
	v_fmamk_f16 v23, v24, 0x3aee, v39
	v_fmac_f16_e32 v39, 0xbaee, v24
	v_pack_b32_f16 v20, v20, v52
	v_pack_b32_f16 v2, v2, v48
	;; [unrolled: 1-line block ×9, first 2 shown]
	ds_write2_b32 v18, v20, v2 offset1:2
	ds_write_b32 v18, v5 offset:16
	ds_write2_b32 v25, v21, v24 offset1:2
	ds_write_b32 v25, v26 offset:16
	;; [unrolled: 2-line block ×3, first 2 shown]
	v_lshlrev_b32_sdwa v0, v28, v44 dst_sel:DWORD dst_unused:UNUSED_PAD src0_sel:DWORD src1_sel:WORD_0
	s_waitcnt lgkmcnt(0)
	s_barrier
	buffer_gl0_inv
	s_clause 0x2
	global_load_dwordx2 v[2:3], v49, s[12:13] offset:16
	global_load_dwordx2 v[20:21], v50, s[12:13] offset:16
	;; [unrolled: 1-line block ×3, first 2 shown]
	v_mov_b32_e32 v5, 0x48
	ds_read_b32 v39, v30
	ds_read_b32 v0, v36
	;; [unrolled: 1-line block ×4, first 2 shown]
	ds_read_b32 v40, v30 offset:3520
	v_mov_b32_e32 v23, 2
	v_mul_u32_u24_sdwa v24, v37, v5 dst_sel:DWORD dst_unused:UNUSED_PAD src0_sel:WORD_0 src1_sel:DWORD
	ds_read2_b32 v[27:28], v27 offset0:20 offset1:130
	ds_read2_b32 v[36:37], v4 offset0:56 offset1:166
	v_lshlrev_b32_sdwa v41, v23, v44 dst_sel:DWORD dst_unused:UNUSED_PAD src0_sel:DWORD src1_sel:WORD_0
	v_mul_u32_u24_sdwa v5, v38, v5 dst_sel:DWORD dst_unused:UNUSED_PAD src0_sel:WORD_0 src1_sel:DWORD
	v_lshlrev_b32_sdwa v38, v23, v43 dst_sel:DWORD dst_unused:UNUSED_PAD src0_sel:DWORD src1_sel:BYTE_0
	v_lshlrev_b32_sdwa v35, v23, v46 dst_sel:DWORD dst_unused:UNUSED_PAD src0_sel:DWORD src1_sel:BYTE_0
	s_waitcnt vmcnt(0) lgkmcnt(0)
	v_add3_u32 v29, 0, v29, v41
	s_barrier
	v_add3_u32 v5, 0, v5, v38
	v_add3_u32 v42, 0, v24, v35
	buffer_gl0_inv
	v_lshrrev_b32_e32 v38, 16, v39
	v_lshrrev_b32_e32 v24, 16, v0
	;; [unrolled: 1-line block ×9, first 2 shown]
	v_mul_f16_sdwa v48, v2, v43 dst_sel:DWORD dst_unused:UNUSED_PAD src0_sel:WORD_1 src1_sel:DWORD
	v_mul_f16_sdwa v49, v2, v34 dst_sel:DWORD dst_unused:UNUSED_PAD src0_sel:WORD_1 src1_sel:DWORD
	;; [unrolled: 1-line block ×10, first 2 shown]
	v_mul_f16_sdwa v58, v41, v26 dst_sel:DWORD dst_unused:UNUSED_PAD src0_sel:DWORD src1_sel:WORD_1
	v_mul_f16_sdwa v59, v40, v26 dst_sel:DWORD dst_unused:UNUSED_PAD src0_sel:DWORD src1_sel:WORD_1
	v_fma_f16 v34, v2, v34, -v48
	v_fmac_f16_e32 v49, v2, v43
	v_fma_f16 v2, v3, v27, -v50
	v_fmac_f16_e32 v51, v3, v44
	;; [unrolled: 2-line block ×6, first 2 shown]
	v_add_f16_e32 v27, v34, v2
	v_add_f16_e32 v37, v49, v51
	;; [unrolled: 1-line block ×7, first 2 shown]
	v_sub_f16_e32 v28, v49, v51
	v_add_f16_e32 v36, v38, v49
	v_sub_f16_e32 v34, v34, v2
	v_fmac_f16_e32 v39, -0.5, v27
	v_fmac_f16_e32 v38, -0.5, v37
	v_add_f16_e32 v40, v18, v3
	v_add_f16_e32 v44, v35, v53
	v_sub_f16_e32 v43, v53, v55
	v_sub_f16_e32 v3, v3, v20
	v_fmac_f16_e32 v18, -0.5, v41
	v_fmac_f16_e32 v35, -0.5, v45
	v_add_f16_e32 v46, v0, v21
	v_sub_f16_e32 v48, v57, v59
	v_add_f16_e32 v49, v24, v57
	v_sub_f16_e32 v21, v21, v25
	v_fmac_f16_e32 v0, -0.5, v47
	v_fmac_f16_e32 v24, -0.5, v50
	v_add_f16_e32 v52, v26, v2
	v_add_f16_e32 v27, v36, v51
	v_fmamk_f16 v37, v28, 0x3aee, v39
	v_fmac_f16_e32 v39, 0xbaee, v28
	v_fmamk_f16 v28, v34, 0xbaee, v38
	v_add_f16_e32 v20, v40, v20
	v_add_f16_e32 v36, v44, v55
	v_fmac_f16_e32 v38, 0x3aee, v34
	v_fmamk_f16 v34, v43, 0x3aee, v18
	v_fmamk_f16 v40, v3, 0xbaee, v35
	v_fmac_f16_e32 v18, 0xbaee, v43
	v_fmac_f16_e32 v35, 0x3aee, v3
	v_add_f16_e32 v2, v46, v25
	v_add_f16_e32 v25, v49, v59
	v_fmamk_f16 v3, v48, 0x3aee, v0
	v_fmamk_f16 v26, v21, 0xbaee, v24
	v_fmac_f16_e32 v0, 0xbaee, v48
	v_fmac_f16_e32 v24, 0x3aee, v21
	v_pack_b32_f16 v21, v52, v27
	v_pack_b32_f16 v28, v37, v28
	;; [unrolled: 1-line block ×9, first 2 shown]
	ds_write2_b32 v42, v21, v28 offset1:6
	ds_write_b32 v42, v36 offset:48
	ds_write2_b32 v5, v20, v34 offset1:6
	ds_write_b32 v5, v37 offset:48
	;; [unrolled: 2-line block ×3, first 2 shown]
	s_waitcnt lgkmcnt(0)
	s_barrier
	buffer_gl0_inv
	ds_read2_b32 v[20:21], v30 offset1:198
	ds_read2_b32 v[4:5], v4 offset0:12 offset1:210
	ds_read_b32 v27, v30 offset:3168
	v_add_nc_u32_e32 v34, v6, v7
	s_and_saveexec_b32 s4, s1
	s_cbranch_execz .LBB0_17
; %bb.16:
	v_add_nc_u32_e32 v0, 0x400, v30
	v_add_nc_u32_e32 v1, 0xb00, v30
	ds_read_b32 v18, v34
	ds_read2_b32 v[2:3], v0 offset0:52 offset1:250
	ds_read2_b32 v[0:1], v1 offset1:198
	s_waitcnt lgkmcnt(2)
	v_lshrrev_b32_e32 v35, 16, v18
	s_waitcnt lgkmcnt(1)
	v_lshrrev_b32_e32 v25, 16, v2
	v_lshrrev_b32_e32 v26, 16, v3
	s_waitcnt lgkmcnt(0)
	v_lshrrev_b32_e32 v24, 16, v0
.LBB0_17:
	s_or_b32 exec_lo, exec_lo, s4
	v_mul_lo_u16 v6, v22, 57
	s_waitcnt lgkmcnt(1)
	v_lshrrev_b32_e32 v36, 16, v4
	v_lshrrev_b32_e32 v46, 16, v5
	;; [unrolled: 1-line block ×4, first 2 shown]
	v_lshrrev_b16 v22, 10, v6
	v_mul_lo_u16 v6, v19, 57
	v_mov_b32_e32 v19, 4
	v_mul_lo_u16 v7, v22, 18
	v_lshrrev_b16 v6, 10, v6
	v_sub_nc_u16 v29, v10, v7
	v_mul_lo_u16 v7, v6, 18
	v_lshlrev_b32_sdwa v28, v19, v29 dst_sel:DWORD dst_unused:UNUSED_PAD src0_sel:DWORD src1_sel:BYTE_0
	v_sub_nc_u16 v7, v14, v7
	v_lshlrev_b32_sdwa v23, v23, v29 dst_sel:DWORD dst_unused:UNUSED_PAD src0_sel:DWORD src1_sel:BYTE_0
	s_waitcnt lgkmcnt(0)
	v_lshrrev_b32_e32 v29, 16, v27
	global_load_dwordx4 v[38:41], v28, s[12:13] offset:64
	v_lshlrev_b32_sdwa v19, v19, v7 dst_sel:DWORD dst_unused:UNUSED_PAD src0_sel:DWORD src1_sel:BYTE_0
	global_load_dwordx4 v[42:45], v19, s[12:13] offset:64
	v_mov_b32_e32 v28, 0x168
	v_lshrrev_b32_e32 v19, 16, v21
	s_waitcnt vmcnt(0)
	s_barrier
	buffer_gl0_inv
	v_mul_u32_u24_sdwa v22, v22, v28 dst_sel:DWORD dst_unused:UNUSED_PAD src0_sel:WORD_0 src1_sel:DWORD
	v_add3_u32 v48, 0, v22, v23
	v_mul_f16_sdwa v22, v38, v19 dst_sel:DWORD dst_unused:UNUSED_PAD src0_sel:WORD_1 src1_sel:DWORD
	v_mul_f16_sdwa v49, v39, v36 dst_sel:DWORD dst_unused:UNUSED_PAD src0_sel:WORD_1 src1_sel:DWORD
	;; [unrolled: 1-line block ×8, first 2 shown]
	v_mul_f16_sdwa v55, v25, v42 dst_sel:DWORD dst_unused:UNUSED_PAD src0_sel:DWORD src1_sel:WORD_1
	v_mul_f16_sdwa v56, v2, v42 dst_sel:DWORD dst_unused:UNUSED_PAD src0_sel:DWORD src1_sel:WORD_1
	;; [unrolled: 1-line block ×8, first 2 shown]
	v_fma_f16 v21, v38, v21, -v22
	v_fma_f16 v4, v39, v4, -v49
	v_fmac_f16_e32 v50, v39, v36
	v_fma_f16 v5, v40, v5, -v51
	v_fmac_f16_e32 v52, v40, v46
	;; [unrolled: 2-line block ×3, first 2 shown]
	v_fmac_f16_e32 v54, v41, v29
	v_fma_f16 v2, v2, v42, -v55
	v_fmac_f16_e32 v56, v25, v42
	v_fma_f16 v3, v3, v43, -v57
	;; [unrolled: 2-line block ×4, first 2 shown]
	v_fmac_f16_e32 v62, v47, v45
	v_add_f16_e32 v22, v4, v5
	v_sub_f16_e32 v38, v4, v21
	v_sub_f16_e32 v39, v5, v36
	v_add_f16_e32 v41, v50, v52
	v_add_f16_e32 v27, v21, v36
	;; [unrolled: 1-line block ×4, first 2 shown]
	v_sub_f16_e32 v24, v23, v54
	v_sub_f16_e32 v25, v21, v4
	;; [unrolled: 1-line block ×3, first 2 shown]
	v_add_f16_e32 v40, v37, v23
	v_sub_f16_e32 v44, v21, v36
	v_sub_f16_e32 v21, v23, v50
	;; [unrolled: 1-line block ×3, first 2 shown]
	v_add_f16_e32 v51, v3, v0
	v_add_f16_e32 v61, v2, v1
	;; [unrolled: 1-line block ×4, first 2 shown]
	v_fma_f16 v23, -0.5, v22, v20
	v_add_f16_e32 v73, v38, v39
	v_fma_f16 v38, -0.5, v41, v37
	v_sub_f16_e32 v29, v50, v52
	v_sub_f16_e32 v45, v4, v5
	v_fmac_f16_e32 v20, -0.5, v27
	v_fmac_f16_e32 v37, -0.5, v43
	v_sub_f16_e32 v42, v54, v52
	v_add_f16_e32 v49, v18, v2
	v_sub_f16_e32 v53, v56, v62
	v_sub_f16_e32 v55, v58, v60
	;; [unrolled: 1-line block ×4, first 2 shown]
	v_add_f16_e32 v65, v35, v56
	v_sub_f16_e32 v2, v2, v1
	v_sub_f16_e32 v67, v3, v0
	v_add_f16_e32 v4, v19, v4
	v_add_f16_e32 v72, v25, v26
	;; [unrolled: 1-line block ×3, first 2 shown]
	v_fma_f16 v19, -0.5, v51, v18
	v_fmac_f16_e32 v18, -0.5, v61
	v_fma_f16 v39, -0.5, v66, v35
	v_fmac_f16_e32 v35, -0.5, v70
	v_fmamk_f16 v22, v24, 0x3b9c, v23
	v_fmamk_f16 v40, v44, 0xbb9c, v38
	v_sub_f16_e32 v47, v52, v54
	v_fmamk_f16 v27, v29, 0xbb9c, v20
	v_fmac_f16_e32 v20, 0x3b9c, v29
	v_fmamk_f16 v41, v45, 0x3b9c, v37
	v_fmac_f16_e32 v37, 0xbb9c, v45
	v_fmac_f16_e32 v23, 0xbb9c, v24
	;; [unrolled: 1-line block ×3, first 2 shown]
	v_sub_f16_e32 v59, v1, v0
	v_sub_f16_e32 v64, v0, v1
	;; [unrolled: 1-line block ×6, first 2 shown]
	v_add_f16_e32 v50, v21, v42
	v_add_f16_e32 v3, v49, v3
	;; [unrolled: 1-line block ×5, first 2 shown]
	v_fmamk_f16 v25, v53, 0x3b9c, v19
	v_fmac_f16_e32 v19, 0xbb9c, v53
	v_fmamk_f16 v26, v55, 0xbb9c, v18
	v_fmac_f16_e32 v18, 0x3b9c, v55
	;; [unrolled: 2-line block ×4, first 2 shown]
	v_fmac_f16_e32 v22, 0x38b4, v29
	v_fmac_f16_e32 v40, 0xb8b4, v45
	v_add_f16_e32 v46, v46, v47
	v_fmac_f16_e32 v27, 0x38b4, v24
	v_fmac_f16_e32 v20, 0xb8b4, v24
	;; [unrolled: 1-line block ×6, first 2 shown]
	v_add_f16_e32 v47, v57, v59
	v_add_f16_e32 v49, v63, v64
	;; [unrolled: 1-line block ×8, first 2 shown]
	v_fmac_f16_e32 v25, 0x38b4, v55
	v_fmac_f16_e32 v19, 0xb8b4, v55
	;; [unrolled: 1-line block ×16, first 2 shown]
	v_add_f16_e32 v24, v0, v1
	v_add_f16_e32 v44, v3, v62
	v_fmac_f16_e32 v25, 0x34f2, v47
	v_fmac_f16_e32 v19, 0x34f2, v47
	;; [unrolled: 1-line block ×7, first 2 shown]
	v_pack_b32_f16 v0, v21, v36
	v_pack_b32_f16 v1, v22, v40
	v_fmac_f16_e32 v35, 0x34f2, v56
	v_pack_b32_f16 v2, v27, v41
	v_pack_b32_f16 v3, v20, v37
	;; [unrolled: 1-line block ×3, first 2 shown]
	ds_write2_b32 v48, v0, v1 offset1:18
	ds_write2_b32 v48, v2, v3 offset0:36 offset1:54
	ds_write_b32 v48, v4 offset:288
	s_and_saveexec_b32 s4, s1
	s_cbranch_execz .LBB0_19
; %bb.18:
	v_mov_b32_e32 v0, 2
	v_mul_u32_u24_sdwa v1, v6, v28 dst_sel:DWORD dst_unused:UNUSED_PAD src0_sel:WORD_0 src1_sel:DWORD
	v_perm_b32 v2, v44, v24, 0x5040100
	v_perm_b32 v3, v42, v25, 0x5040100
	;; [unrolled: 1-line block ×3, first 2 shown]
	v_lshlrev_b32_sdwa v0, v0, v7 dst_sel:DWORD dst_unused:UNUSED_PAD src0_sel:DWORD src1_sel:BYTE_0
	v_perm_b32 v5, v39, v19, 0x5040100
	v_add3_u32 v0, 0, v1, v0
	v_perm_b32 v1, v35, v18, 0x5040100
	ds_write2_b32 v0, v2, v3 offset1:18
	ds_write2_b32 v0, v4, v1 offset0:36 offset1:54
	ds_write_b32 v0, v5 offset:288
.LBB0_19:
	s_or_b32 exec_lo, exec_lo, s4
	v_cmp_gt_u32_e64 s1, 0x5a, v10
	s_waitcnt lgkmcnt(0)
	s_barrier
	buffer_gl0_inv
                                        ; implicit-def: $vgpr46
                                        ; implicit-def: $vgpr45
	s_and_saveexec_b32 s4, s1
	s_cbranch_execz .LBB0_21
; %bb.20:
	v_add_nc_u32_e32 v0, 0xa00, v30
	v_add_nc_u32_e32 v1, 0x200, v30
	;; [unrolled: 1-line block ×3, first 2 shown]
	ds_read2_b32 v[21:22], v30 offset1:90
	ds_read_b32 v45, v30 offset:3600
	ds_read2_b32 v[18:19], v0 offset0:80 offset1:170
	v_add_nc_u32_e32 v0, 0x800, v30
	ds_read2_b32 v[27:28], v1 offset0:52 offset1:142
	ds_read2_b32 v[23:24], v2 offset0:104 offset1:194
	;; [unrolled: 1-line block ×3, first 2 shown]
	s_waitcnt lgkmcnt(5)
	v_lshrrev_b32_e32 v36, 16, v21
	s_waitcnt lgkmcnt(4)
	v_lshrrev_b32_e32 v46, 16, v45
	v_lshrrev_b32_e32 v40, 16, v22
	s_waitcnt lgkmcnt(3)
	v_lshrrev_b32_e32 v35, 16, v18
	v_lshrrev_b32_e32 v39, 16, v19
	s_waitcnt lgkmcnt(2)
	v_lshrrev_b32_e32 v41, 16, v27
	v_lshrrev_b32_e32 v37, 16, v28
	s_waitcnt lgkmcnt(1)
	v_lshrrev_b32_e32 v38, 16, v23
	v_lshrrev_b32_e32 v44, 16, v24
	s_waitcnt lgkmcnt(0)
	v_lshrrev_b32_e32 v42, 16, v25
	v_lshrrev_b32_e32 v43, 16, v26
	v_mov_b32_e32 v20, v28
.LBB0_21:
	s_or_b32 exec_lo, exec_lo, s4
	s_barrier
	buffer_gl0_inv
	s_and_saveexec_b32 s4, s1
	s_cbranch_execz .LBB0_23
; %bb.22:
	v_add_nc_u32_e32 v0, 0xffffffa6, v10
	v_mov_b32_e32 v1, 0
	v_add_nc_u32_e32 v47, 0x200, v30
	v_add_nc_u32_e32 v48, 0x400, v30
	;; [unrolled: 1-line block ×3, first 2 shown]
	v_cndmask_b32_e64 v0, v0, v10, s1
	v_add_nc_u32_e32 v50, 0xa00, v30
	v_mul_i32_i24_e32 v0, 10, v0
	v_lshlrev_b64 v[0:1], 2, v[0:1]
	v_add_co_u32 v0, s1, s12, v0
	v_add_co_ci_u32_e64 v1, s1, s13, v1, s1
	s_clause 0x2
	global_load_dwordx2 v[28:29], v[0:1], off offset:384
	global_load_dwordx4 v[4:7], v[0:1], off offset:352
	global_load_dwordx4 v[0:3], v[0:1], off offset:368
	s_waitcnt vmcnt(2)
	v_mul_f16_sdwa v54, v46, v29 dst_sel:DWORD dst_unused:UNUSED_PAD src0_sel:DWORD src1_sel:WORD_1
	s_waitcnt vmcnt(1)
	v_mul_f16_sdwa v52, v22, v4 dst_sel:DWORD dst_unused:UNUSED_PAD src0_sel:DWORD src1_sel:WORD_1
	v_mul_f16_sdwa v53, v40, v4 dst_sel:DWORD dst_unused:UNUSED_PAD src0_sel:DWORD src1_sel:WORD_1
	;; [unrolled: 1-line block ×5, first 2 shown]
	s_waitcnt vmcnt(0)
	v_mul_f16_sdwa v59, v18, v3 dst_sel:DWORD dst_unused:UNUSED_PAD src0_sel:DWORD src1_sel:WORD_1
	v_mul_f16_sdwa v60, v20, v6 dst_sel:DWORD dst_unused:UNUSED_PAD src0_sel:DWORD src1_sel:WORD_1
	;; [unrolled: 1-line block ×3, first 2 shown]
	v_fmac_f16_e32 v52, v40, v4
	v_fma_f16 v4, v22, v4, -v53
	v_fma_f16 v22, v45, v29, -v54
	v_mul_f16_sdwa v51, v45, v29 dst_sel:DWORD dst_unused:UNUSED_PAD src0_sel:DWORD src1_sel:WORD_1
	v_mul_f16_sdwa v63, v26, v2 dst_sel:DWORD dst_unused:UNUSED_PAD src0_sel:DWORD src1_sel:WORD_1
	;; [unrolled: 1-line block ×5, first 2 shown]
	v_fmac_f16_e32 v55, v39, v28
	v_fmac_f16_e32 v56, v41, v5
	v_fma_f16 v5, v27, v5, -v57
	v_fmac_f16_e32 v59, v35, v3
	v_fmac_f16_e32 v60, v37, v6
	v_fma_f16 v6, v20, v6, -v61
	v_sub_f16_e32 v20, v4, v22
	v_add_f16_e32 v35, v4, v22
	v_add_f16_e32 v4, v21, v4
	;; [unrolled: 1-line block ×3, first 2 shown]
	v_mul_f16_sdwa v65, v38, v7 dst_sel:DWORD dst_unused:UNUSED_PAD src0_sel:DWORD src1_sel:WORD_1
	v_mul_f16_sdwa v66, v43, v2 dst_sel:DWORD dst_unused:UNUSED_PAD src0_sel:DWORD src1_sel:WORD_1
	;; [unrolled: 1-line block ×6, first 2 shown]
	v_fmac_f16_e32 v51, v46, v29
	v_fmac_f16_e32 v63, v43, v2
	;; [unrolled: 1-line block ×3, first 2 shown]
	v_add_f16_e32 v39, v39, v56
	v_add_f16_e32 v4, v4, v5
	v_fma_f16 v19, v19, v28, -v58
	v_fma_f16 v3, v18, v3, -v62
	;; [unrolled: 1-line block ×4, first 2 shown]
	v_fmac_f16_e32 v67, v42, v1
	v_fmac_f16_e32 v68, v44, v0
	v_fma_f16 v0, v24, v0, -v69
	v_fma_f16 v1, v25, v1, -v70
	v_add_f16_e32 v18, v52, v51
	v_add_f16_e32 v23, v56, v55
	;; [unrolled: 1-line block ×4, first 2 shown]
	v_sub_f16_e32 v37, v52, v51
	v_add_f16_e32 v39, v39, v60
	v_add_f16_e32 v4, v4, v6
	v_sub_f16_e32 v24, v5, v19
	v_sub_f16_e32 v26, v6, v3
	;; [unrolled: 1-line block ×3, first 2 shown]
	v_add_f16_e32 v29, v68, v67
	v_sub_f16_e32 v38, v0, v1
	v_sub_f16_e32 v40, v56, v55
	;; [unrolled: 1-line block ×5, first 2 shown]
	v_mul_f16_e32 v53, 0x36a6, v18
	v_mul_f16_e32 v54, 0xb93d, v23
	;; [unrolled: 1-line block ×22, first 2 shown]
	v_add_f16_e32 v45, v7, v2
	v_add_f16_e32 v4, v4, v7
	v_add_f16_e32 v7, v39, v64
	v_add_f16_e32 v41, v5, v19
	v_add_f16_e32 v43, v6, v3
	v_add_f16_e32 v52, v0, v1
	v_mul_f16_e32 v82, 0xbb47, v24
	v_mul_f16_e32 v83, 0xbbeb, v26
	;; [unrolled: 1-line block ×28, first 2 shown]
	v_fmamk_f16 v104, v20, 0x3b47, v53
	v_fmamk_f16 v105, v24, 0x3a0c, v54
	;; [unrolled: 1-line block ×14, first 2 shown]
	v_fma_f16 v80, v35, 0xbbad, -v80
	v_fma_f16 v75, v35, 0xb93d, -v75
	;; [unrolled: 1-line block ×5, first 2 shown]
	v_fmac_f16_e32 v37, 0x3abb, v35
	v_fmamk_f16 v35, v26, 0x3853, v73
	v_fmamk_f16 v119, v28, 0x3482, v74
	;; [unrolled: 1-line block ×3, first 2 shown]
	v_fmac_f16_e32 v76, 0xb482, v20
	v_fmac_f16_e32 v71, 0xba0c, v20
	v_fmac_f16_e32 v62, 0xbbeb, v20
	v_fmac_f16_e32 v53, 0xbb47, v20
	v_fmamk_f16 v20, v24, 0xb853, v77
	v_fmac_f16_e32 v77, 0x3853, v24
	v_fmac_f16_e32 v72, 0x3beb, v24
	v_fmac_f16_e32 v65, 0x3482, v24
	v_fmac_f16_e32 v54, 0xba0c, v24
	v_fmamk_f16 v24, v26, 0x3a0c, v78
	;; [unrolled: 5-line block ×4, first 2 shown]
	v_add_f16_e32 v0, v4, v0
	v_add_f16_e32 v4, v7, v68
	v_fma_f16 v18, v18, 0x3abb, -v81
	v_fmamk_f16 v81, v23, 0x36a6, v82
	v_fma_f16 v23, v23, 0x36a6, -v82
	v_fmamk_f16 v82, v25, 0xb08e, v83
	;; [unrolled: 2-line block ×4, first 2 shown]
	v_fmac_f16_e32 v85, 0xbbeb, v38
	v_fmamk_f16 v121, v38, 0xbb47, v86
	v_fmac_f16_e32 v86, 0x3b47, v38
	v_fmamk_f16 v122, v38, 0x3a0c, v87
	;; [unrolled: 2-line block ×4, first 2 shown]
	v_fma_f16 v29, v29, 0xbbad, -v89
	v_fmamk_f16 v89, v41, 0x3abb, v5
	v_fma_f16 v5, v41, 0x3abb, -v5
	v_fmamk_f16 v124, v41, 0xb08e, v90
	;; [unrolled: 2-line block ×4, first 2 shown]
	v_fma_f16 v56, v41, 0xb93d, -v56
	v_fma_f16 v127, v41, 0x36a6, -v40
	v_fmac_f16_e32 v40, 0x36a6, v41
	v_fmamk_f16 v6, v43, 0xb93d, v92
	v_fma_f16 v41, v43, 0xb93d, -v92
	v_fmamk_f16 v60, v43, 0x3abb, v94
	v_fma_f16 v92, v43, 0x3abb, -v94
	v_fmamk_f16 v94, v43, 0x36a6, v95
	v_fma_f16 v95, v43, 0x36a6, -v95
	v_fmamk_f16 v128, v43, 0xbbad, v93
	v_fma_f16 v93, v43, 0xbbad, -v93
	v_fma_f16 v129, v43, 0xb08e, -v42
	v_fmac_f16_e32 v42, 0xb08e, v43
	v_fmamk_f16 v43, v45, 0x36a6, v99
	v_fma_f16 v99, v45, 0x36a6, -v99
	v_fmamk_f16 v130, v45, 0xbbad, v98
	v_fma_f16 v98, v45, 0xbbad, -v98
	v_fmamk_f16 v131, v45, 0x3abb, v97
	v_fma_f16 v97, v45, 0x3abb, -v97
	v_fmamk_f16 v132, v45, 0xb08e, v96
	;; [unrolled: 10-line block ×3, first 2 shown]
	v_fma_f16 v100, v52, 0x3abb, -v100
	v_fma_f16 v137, v52, 0xbbad, -v46
	v_fmac_f16_e32 v46, 0xbbad, v52
	v_add_f16_e32 v52, v21, v108
	v_add_f16_e32 v108, v21, v113
	;; [unrolled: 1-line block ×110, first 2 shown]
	v_pack_b32_f16 v3, v3, v28
	v_pack_b32_f16 v19, v40, v39
	;; [unrolled: 1-line block ×11, first 2 shown]
	ds_write2_b32 v47, v19, v28 offset0:52 offset1:142
	ds_write2_b32 v48, v26, v5 offset0:104 offset1:194
	ds_write2_b32 v49, v6, v20 offset0:28 offset1:118
	ds_write2_b32 v50, v21, v7 offset0:80 offset1:170
	ds_write2_b32 v30, v0, v3 offset1:90
	ds_write_b32 v30, v2 offset:3600
.LBB0_23:
	s_or_b32 exec_lo, exec_lo, s4
	s_waitcnt lgkmcnt(0)
	s_barrier
	buffer_gl0_inv
	ds_read_b32 v6, v30
	v_sub_nc_u32_e32 v0, 0, v11
	s_add_u32 s4, s12, 0xf70
	s_addc_u32 s5, s13, 0
	s_mov_b32 s6, exec_lo
                                        ; implicit-def: $vgpr5
                                        ; implicit-def: $vgpr4
                                        ; implicit-def: $vgpr2
	v_cmpx_ne_u32_e32 0, v10
	s_xor_b32 s6, exec_lo, s6
	s_cbranch_execz .LBB0_25
; %bb.24:
	v_mov_b32_e32 v11, 0
	v_lshlrev_b64 v[1:2], 2, v[10:11]
	v_add_co_u32 v1, s1, s4, v1
	v_add_co_ci_u32_e64 v2, s1, s5, v2, s1
	global_load_dword v1, v[1:2], off
	ds_read_b32 v2, v0 offset:3960
	s_waitcnt lgkmcnt(0)
	v_sub_f16_e32 v3, v6, v2
	v_add_f16_sdwa v4, v2, v6 dst_sel:DWORD dst_unused:UNUSED_PAD src0_sel:WORD_1 src1_sel:WORD_1
	v_sub_f16_sdwa v5, v6, v2 dst_sel:DWORD dst_unused:UNUSED_PAD src0_sel:WORD_1 src1_sel:WORD_1
	v_add_f16_e32 v2, v2, v6
	v_mul_f16_e32 v3, 0.5, v3
	v_mul_f16_e32 v4, 0.5, v4
	;; [unrolled: 1-line block ×3, first 2 shown]
	s_waitcnt vmcnt(0)
	v_lshrrev_b32_e32 v7, 16, v1
	v_mul_f16_e32 v6, v7, v3
	v_fma_f16 v11, v4, v7, v5
	v_fma_f16 v5, v4, v7, -v5
	v_fma_f16 v18, 0.5, v2, v6
	v_fma_f16 v6, v2, 0.5, -v6
	v_fma_f16 v2, -v1, v3, v11
	v_fma_f16 v5, -v1, v3, v5
	v_fmac_f16_e32 v18, v1, v4
	v_fma_f16 v4, -v1, v4, v6
                                        ; implicit-def: $vgpr6
	ds_write_b16 v30, v18
.LBB0_25:
	s_or_saveexec_b32 s1, s6
	v_sub_nc_u32_e32 v1, 0, v15
	v_sub_nc_u32_e32 v3, 0, v33
	s_xor_b32 exec_lo, exec_lo, s1
	s_cbranch_execz .LBB0_27
; %bb.26:
	v_mov_b32_e32 v2, 0
	s_waitcnt lgkmcnt(0)
	v_add_f16_sdwa v7, v6, v6 dst_sel:DWORD dst_unused:UNUSED_PAD src0_sel:WORD_1 src1_sel:DWORD
	v_sub_f16_sdwa v4, v6, v6 dst_sel:DWORD dst_unused:UNUSED_PAD src0_sel:DWORD src1_sel:WORD_1
	ds_read_u16 v5, v2 offset:1982
	s_waitcnt lgkmcnt(0)
	v_xor_b32_e32 v6, 0x8000, v5
	v_mov_b32_e32 v5, 0
	ds_write_b16 v30, v7
	ds_write_b16 v2, v6 offset:1982
.LBB0_27:
	s_or_b32 exec_lo, exec_lo, s1
	v_mov_b32_e32 v15, 0
	v_perm_b32 v4, v5, v4, 0x5040100
	ds_write_b16 v30, v2 offset:2
	ds_read_b32 v2, v0 offset:3520
	v_add_nc_u32_e32 v3, v32, v3
	s_waitcnt lgkmcnt(2)
	v_lshlrev_b64 v[6:7], 2, v[14:15]
	v_mov_b32_e32 v18, v15
	ds_write_b32 v0, v4 offset:3960
	ds_read_b32 v4, v34
	v_add_nc_u32_e32 v1, v31, v1
	v_add_co_u32 v6, s1, s4, v6
	v_add_co_ci_u32_e64 v7, s1, s5, v7, s1
	global_load_dword v11, v[6:7], off
	v_lshlrev_b64 v[6:7], 2, v[17:18]
	v_mov_b32_e32 v17, v15
	v_add_co_u32 v6, s1, s4, v6
	v_add_co_ci_u32_e64 v7, s1, s5, v7, s1
	s_waitcnt lgkmcnt(0)
	v_pk_add_f16 v5, v4, v2 neg_lo:[0,1] neg_hi:[0,1]
	v_pk_add_f16 v2, v4, v2
	global_load_dword v14, v[6:7], off
	v_lshlrev_b64 v[6:7], 2, v[16:17]
	v_bfi_b32 v4, 0xffff, v5, v2
	v_bfi_b32 v2, 0xffff, v2, v5
	v_add_co_u32 v6, s1, s4, v6
	v_add_co_ci_u32_e64 v7, s1, s5, v7, s1
	v_pk_mul_f16 v4, v4, 0.5 op_sel_hi:[1,0]
	v_pk_mul_f16 v2, v2, 0.5 op_sel_hi:[1,0]
	global_load_dword v6, v[6:7], off
	s_waitcnt vmcnt(2)
	v_pk_fma_f16 v5, v11, v4, v2 op_sel:[1,0,0]
	v_pk_mul_f16 v7, v11, v4 op_sel_hi:[0,1]
	v_pk_fma_f16 v16, v11, v4, v2 op_sel:[1,0,0] neg_lo:[1,0,0] neg_hi:[1,0,0]
	v_pk_fma_f16 v2, v11, v4, v2 op_sel:[1,0,0] neg_lo:[0,0,1] neg_hi:[0,0,1]
	v_pk_add_f16 v4, v5, v7 op_sel:[0,1] op_sel_hi:[1,0]
	v_pk_add_f16 v5, v5, v7 op_sel:[0,1] op_sel_hi:[1,0] neg_lo:[0,1] neg_hi:[0,1]
	v_pk_add_f16 v11, v16, v7 op_sel:[0,1] op_sel_hi:[1,0] neg_lo:[0,1] neg_hi:[0,1]
	;; [unrolled: 1-line block ×3, first 2 shown]
	v_bfi_b32 v4, 0xffff, v4, v5
	v_bfi_b32 v2, 0xffff, v11, v2
	ds_write_b32 v34, v4
	ds_write_b32 v0, v2 offset:3520
	ds_read_b32 v2, v3
	ds_read_b32 v4, v0 offset:3080
	s_waitcnt lgkmcnt(0)
	v_pk_add_f16 v5, v2, v4 neg_lo:[0,1] neg_hi:[0,1]
	v_pk_add_f16 v2, v2, v4
	v_bfi_b32 v4, 0xffff, v5, v2
	v_bfi_b32 v2, 0xffff, v2, v5
	v_pk_mul_f16 v4, v4, 0.5 op_sel_hi:[1,0]
	v_pk_mul_f16 v2, v2, 0.5 op_sel_hi:[1,0]
	s_waitcnt vmcnt(1)
	v_pk_mul_f16 v7, v14, v4 op_sel_hi:[0,1]
	v_pk_fma_f16 v5, v14, v4, v2 op_sel:[1,0,0]
	v_pk_fma_f16 v11, v14, v4, v2 op_sel:[1,0,0] neg_lo:[1,0,0] neg_hi:[1,0,0]
	v_pk_fma_f16 v2, v14, v4, v2 op_sel:[1,0,0] neg_lo:[0,0,1] neg_hi:[0,0,1]
	v_pk_add_f16 v4, v5, v7 op_sel:[0,1] op_sel_hi:[1,0]
	v_pk_add_f16 v5, v5, v7 op_sel:[0,1] op_sel_hi:[1,0] neg_lo:[0,1] neg_hi:[0,1]
	v_pk_add_f16 v11, v11, v7 op_sel:[0,1] op_sel_hi:[1,0] neg_lo:[0,1] neg_hi:[0,1]
	;; [unrolled: 1-line block ×3, first 2 shown]
	v_bfi_b32 v4, 0xffff, v4, v5
	v_bfi_b32 v2, 0xffff, v11, v2
	ds_write_b32 v3, v4
	ds_write_b32 v0, v2 offset:3080
	ds_read_b32 v2, v1
	ds_read_b32 v3, v0 offset:2640
	s_waitcnt lgkmcnt(0)
	v_pk_add_f16 v4, v2, v3 neg_lo:[0,1] neg_hi:[0,1]
	v_pk_add_f16 v2, v2, v3
	v_bfi_b32 v3, 0xffff, v4, v2
	v_bfi_b32 v2, 0xffff, v2, v4
	v_pk_mul_f16 v3, v3, 0.5 op_sel_hi:[1,0]
	v_pk_mul_f16 v2, v2, 0.5 op_sel_hi:[1,0]
	s_waitcnt vmcnt(0)
	v_pk_mul_f16 v5, v6, v3 op_sel_hi:[0,1]
	v_pk_fma_f16 v4, v6, v3, v2 op_sel:[1,0,0]
	v_pk_fma_f16 v7, v6, v3, v2 op_sel:[1,0,0] neg_lo:[1,0,0] neg_hi:[1,0,0]
	v_pk_fma_f16 v2, v6, v3, v2 op_sel:[1,0,0] neg_lo:[0,0,1] neg_hi:[0,0,1]
	v_pk_add_f16 v3, v4, v5 op_sel:[0,1] op_sel_hi:[1,0]
	v_pk_add_f16 v4, v4, v5 op_sel:[0,1] op_sel_hi:[1,0] neg_lo:[0,1] neg_hi:[0,1]
	v_pk_add_f16 v6, v7, v5 op_sel:[0,1] op_sel_hi:[1,0] neg_lo:[0,1] neg_hi:[0,1]
	;; [unrolled: 1-line block ×3, first 2 shown]
	v_bfi_b32 v3, 0xffff, v3, v4
	v_bfi_b32 v2, 0xffff, v6, v2
	ds_write_b32 v1, v3
	ds_write_b32 v0, v2 offset:2640
	s_and_saveexec_b32 s1, s0
	s_cbranch_execz .LBB0_29
; %bb.28:
	v_mov_b32_e32 v11, v15
	v_lshlrev_b64 v[1:2], 2, v[10:11]
	v_add_co_u32 v1, s0, s4, v1
	v_add_co_ci_u32_e64 v2, s0, s5, v2, s0
	global_load_dword v1, v[1:2], off offset:1760
	ds_read_b32 v2, v30 offset:1760
	ds_read_b32 v3, v0 offset:2200
	s_waitcnt lgkmcnt(0)
	v_pk_add_f16 v4, v2, v3 neg_lo:[0,1] neg_hi:[0,1]
	v_pk_add_f16 v2, v2, v3
	v_bfi_b32 v3, 0xffff, v4, v2
	v_bfi_b32 v2, 0xffff, v2, v4
	v_pk_mul_f16 v3, v3, 0.5 op_sel_hi:[1,0]
	v_pk_mul_f16 v2, v2, 0.5 op_sel_hi:[1,0]
	s_waitcnt vmcnt(0)
	v_pk_fma_f16 v4, v1, v3, v2 op_sel:[1,0,0]
	v_pk_mul_f16 v5, v1, v3 op_sel_hi:[0,1]
	v_pk_fma_f16 v6, v1, v3, v2 op_sel:[1,0,0] neg_lo:[1,0,0] neg_hi:[1,0,0]
	v_pk_fma_f16 v1, v1, v3, v2 op_sel:[1,0,0] neg_lo:[0,0,1] neg_hi:[0,0,1]
	v_pk_add_f16 v2, v4, v5 op_sel:[0,1] op_sel_hi:[1,0]
	v_pk_add_f16 v3, v4, v5 op_sel:[0,1] op_sel_hi:[1,0] neg_lo:[0,1] neg_hi:[0,1]
	v_pk_add_f16 v4, v6, v5 op_sel:[0,1] op_sel_hi:[1,0] neg_lo:[0,1] neg_hi:[0,1]
	;; [unrolled: 1-line block ×3, first 2 shown]
	v_bfi_b32 v2, 0xffff, v2, v3
	v_bfi_b32 v1, 0xffff, v4, v1
	ds_write_b32 v30, v2 offset:1760
	ds_write_b32 v0, v1 offset:2200
.LBB0_29:
	s_or_b32 exec_lo, exec_lo, s1
	s_waitcnt lgkmcnt(0)
	s_barrier
	buffer_gl0_inv
	s_and_saveexec_b32 s0, vcc_lo
	s_cbranch_execz .LBB0_32
; %bb.30:
	v_mul_lo_u32 v2, s3, v12
	v_mul_lo_u32 v3, s2, v13
	v_mad_u64_u32 v[0:1], null, s2, v12, 0
	v_lshl_add_u32 v20, v10, 2, 0
	v_mov_b32_e32 v11, 0
	v_add_nc_u32_e32 v4, 0x6e, v10
	v_add_nc_u32_e32 v6, 0xdc, v10
	;; [unrolled: 1-line block ×4, first 2 shown]
	v_add3_u32 v1, v1, v3, v2
	v_lshlrev_b64 v[2:3], 2, v[8:9]
	ds_read2_b32 v[8:9], v20 offset1:110
	v_lshlrev_b64 v[13:14], 2, v[10:11]
	v_mov_b32_e32 v5, v11
	v_lshlrev_b64 v[0:1], 2, v[0:1]
	v_mov_b32_e32 v7, v11
	v_mov_b32_e32 v15, v11
	;; [unrolled: 1-line block ×3, first 2 shown]
	v_lshlrev_b64 v[4:5], 2, v[4:5]
	v_add_co_u32 v0, vcc_lo, s10, v0
	v_add_co_ci_u32_e32 v1, vcc_lo, s11, v1, vcc_lo
	v_lshlrev_b64 v[6:7], 2, v[6:7]
	v_add_co_u32 v0, vcc_lo, v0, v2
	v_add_co_ci_u32_e32 v1, vcc_lo, v1, v3, vcc_lo
	v_add_co_u32 v2, vcc_lo, v0, v13
	v_add_co_ci_u32_e32 v3, vcc_lo, v1, v14, vcc_lo
	v_add_nc_u32_e32 v14, 0x200, v20
	v_mov_b32_e32 v13, v11
	s_waitcnt lgkmcnt(0)
	global_store_dword v[2:3], v8, off
	v_add_nc_u32_e32 v8, 0x600, v20
	v_add_co_u32 v2, vcc_lo, v0, v4
	v_add_co_ci_u32_e32 v3, vcc_lo, v1, v5, vcc_lo
	ds_read2_b32 v[4:5], v14 offset0:92 offset1:202
	ds_read2_b32 v[16:17], v8 offset0:56 offset1:166
	v_add_nc_u32_e32 v14, 0x1b8, v10
	v_lshlrev_b64 v[12:13], 2, v[12:13]
	v_add_co_u32 v6, vcc_lo, v0, v6
	v_add_co_ci_u32_e32 v7, vcc_lo, v1, v7, vcc_lo
	v_lshlrev_b64 v[14:15], 2, v[14:15]
	v_add_co_u32 v12, vcc_lo, v0, v12
	v_add_co_ci_u32_e32 v13, vcc_lo, v1, v13, vcc_lo
	v_add_nc_u32_e32 v8, 0xa00, v20
	v_add_co_u32 v14, vcc_lo, v0, v14
	v_add_co_ci_u32_e32 v15, vcc_lo, v1, v15, vcc_lo
	global_store_dword v[2:3], v9, off
	s_waitcnt lgkmcnt(1)
	global_store_dword v[6:7], v4, off
	global_store_dword v[12:13], v5, off
	s_waitcnt lgkmcnt(0)
	global_store_dword v[14:15], v16, off
	v_add_nc_u32_e32 v4, 0x294, v10
	v_mov_b32_e32 v5, v11
	v_lshlrev_b64 v[2:3], 2, v[18:19]
	v_add_nc_u32_e32 v6, 0x302, v10
	v_mov_b32_e32 v7, v11
	ds_read2_b32 v[8:9], v8 offset0:20 offset1:130
	v_lshlrev_b64 v[4:5], 2, v[4:5]
	v_add_nc_u32_e32 v12, 0x370, v10
	v_mov_b32_e32 v13, v11
	v_add_co_u32 v2, vcc_lo, v0, v2
	v_lshlrev_b64 v[6:7], 2, v[6:7]
	ds_read_b32 v14, v20 offset:3520
	v_add_co_ci_u32_e32 v3, vcc_lo, v1, v3, vcc_lo
	v_add_co_u32 v4, vcc_lo, v0, v4
	v_lshlrev_b64 v[12:13], 2, v[12:13]
	v_add_co_ci_u32_e32 v5, vcc_lo, v1, v5, vcc_lo
	v_add_co_u32 v6, vcc_lo, v0, v6
	v_add_co_ci_u32_e32 v7, vcc_lo, v1, v7, vcc_lo
	v_add_co_u32 v12, vcc_lo, v0, v12
	v_add_co_ci_u32_e32 v13, vcc_lo, v1, v13, vcc_lo
	v_cmp_eq_u32_e32 vcc_lo, 0x6d, v10
	global_store_dword v[2:3], v17, off
	s_waitcnt lgkmcnt(1)
	global_store_dword v[4:5], v8, off
	global_store_dword v[6:7], v9, off
	s_waitcnt lgkmcnt(0)
	global_store_dword v[12:13], v14, off
	s_and_b32 exec_lo, exec_lo, vcc_lo
	s_cbranch_execz .LBB0_32
; %bb.31:
	ds_read_b32 v2, v11 offset:3960
	v_add_co_u32 v0, vcc_lo, 0x800, v0
	v_add_co_ci_u32_e32 v1, vcc_lo, 0, v1, vcc_lo
	s_waitcnt lgkmcnt(0)
	global_store_dword v[0:1], v2, off offset:1912
.LBB0_32:
	s_endpgm
	.section	.rodata,"a",@progbits
	.p2align	6, 0x0
	.amdhsa_kernel fft_rtc_fwd_len990_factors_2_3_3_5_11_wgs_110_tpt_110_half_op_CI_CI_unitstride_sbrr_R2C_dirReg
		.amdhsa_group_segment_fixed_size 0
		.amdhsa_private_segment_fixed_size 0
		.amdhsa_kernarg_size 104
		.amdhsa_user_sgpr_count 6
		.amdhsa_user_sgpr_private_segment_buffer 1
		.amdhsa_user_sgpr_dispatch_ptr 0
		.amdhsa_user_sgpr_queue_ptr 0
		.amdhsa_user_sgpr_kernarg_segment_ptr 1
		.amdhsa_user_sgpr_dispatch_id 0
		.amdhsa_user_sgpr_flat_scratch_init 0
		.amdhsa_user_sgpr_private_segment_size 0
		.amdhsa_wavefront_size32 1
		.amdhsa_uses_dynamic_stack 0
		.amdhsa_system_sgpr_private_segment_wavefront_offset 0
		.amdhsa_system_sgpr_workgroup_id_x 1
		.amdhsa_system_sgpr_workgroup_id_y 0
		.amdhsa_system_sgpr_workgroup_id_z 0
		.amdhsa_system_sgpr_workgroup_info 0
		.amdhsa_system_vgpr_workitem_id 0
		.amdhsa_next_free_vgpr 138
		.amdhsa_next_free_sgpr 27
		.amdhsa_reserve_vcc 1
		.amdhsa_reserve_flat_scratch 0
		.amdhsa_float_round_mode_32 0
		.amdhsa_float_round_mode_16_64 0
		.amdhsa_float_denorm_mode_32 3
		.amdhsa_float_denorm_mode_16_64 3
		.amdhsa_dx10_clamp 1
		.amdhsa_ieee_mode 1
		.amdhsa_fp16_overflow 0
		.amdhsa_workgroup_processor_mode 1
		.amdhsa_memory_ordered 1
		.amdhsa_forward_progress 0
		.amdhsa_shared_vgpr_count 0
		.amdhsa_exception_fp_ieee_invalid_op 0
		.amdhsa_exception_fp_denorm_src 0
		.amdhsa_exception_fp_ieee_div_zero 0
		.amdhsa_exception_fp_ieee_overflow 0
		.amdhsa_exception_fp_ieee_underflow 0
		.amdhsa_exception_fp_ieee_inexact 0
		.amdhsa_exception_int_div_zero 0
	.end_amdhsa_kernel
	.text
.Lfunc_end0:
	.size	fft_rtc_fwd_len990_factors_2_3_3_5_11_wgs_110_tpt_110_half_op_CI_CI_unitstride_sbrr_R2C_dirReg, .Lfunc_end0-fft_rtc_fwd_len990_factors_2_3_3_5_11_wgs_110_tpt_110_half_op_CI_CI_unitstride_sbrr_R2C_dirReg
                                        ; -- End function
	.section	.AMDGPU.csdata,"",@progbits
; Kernel info:
; codeLenInByte = 9356
; NumSgprs: 29
; NumVgprs: 138
; ScratchSize: 0
; MemoryBound: 0
; FloatMode: 240
; IeeeMode: 1
; LDSByteSize: 0 bytes/workgroup (compile time only)
; SGPRBlocks: 3
; VGPRBlocks: 17
; NumSGPRsForWavesPerEU: 29
; NumVGPRsForWavesPerEU: 138
; Occupancy: 7
; WaveLimiterHint : 1
; COMPUTE_PGM_RSRC2:SCRATCH_EN: 0
; COMPUTE_PGM_RSRC2:USER_SGPR: 6
; COMPUTE_PGM_RSRC2:TRAP_HANDLER: 0
; COMPUTE_PGM_RSRC2:TGID_X_EN: 1
; COMPUTE_PGM_RSRC2:TGID_Y_EN: 0
; COMPUTE_PGM_RSRC2:TGID_Z_EN: 0
; COMPUTE_PGM_RSRC2:TIDIG_COMP_CNT: 0
	.text
	.p2alignl 6, 3214868480
	.fill 48, 4, 3214868480
	.type	__hip_cuid_f1b89d81eb97b56,@object ; @__hip_cuid_f1b89d81eb97b56
	.section	.bss,"aw",@nobits
	.globl	__hip_cuid_f1b89d81eb97b56
__hip_cuid_f1b89d81eb97b56:
	.byte	0                               ; 0x0
	.size	__hip_cuid_f1b89d81eb97b56, 1

	.ident	"AMD clang version 19.0.0git (https://github.com/RadeonOpenCompute/llvm-project roc-6.4.0 25133 c7fe45cf4b819c5991fe208aaa96edf142730f1d)"
	.section	".note.GNU-stack","",@progbits
	.addrsig
	.addrsig_sym __hip_cuid_f1b89d81eb97b56
	.amdgpu_metadata
---
amdhsa.kernels:
  - .args:
      - .actual_access:  read_only
        .address_space:  global
        .offset:         0
        .size:           8
        .value_kind:     global_buffer
      - .offset:         8
        .size:           8
        .value_kind:     by_value
      - .actual_access:  read_only
        .address_space:  global
        .offset:         16
        .size:           8
        .value_kind:     global_buffer
      - .actual_access:  read_only
        .address_space:  global
        .offset:         24
        .size:           8
        .value_kind:     global_buffer
      - .actual_access:  read_only
        .address_space:  global
        .offset:         32
        .size:           8
        .value_kind:     global_buffer
      - .offset:         40
        .size:           8
        .value_kind:     by_value
      - .actual_access:  read_only
        .address_space:  global
        .offset:         48
        .size:           8
        .value_kind:     global_buffer
      - .actual_access:  read_only
        .address_space:  global
        .offset:         56
        .size:           8
        .value_kind:     global_buffer
      - .offset:         64
        .size:           4
        .value_kind:     by_value
      - .actual_access:  read_only
        .address_space:  global
        .offset:         72
        .size:           8
        .value_kind:     global_buffer
      - .actual_access:  read_only
        .address_space:  global
        .offset:         80
        .size:           8
        .value_kind:     global_buffer
      - .actual_access:  read_only
        .address_space:  global
        .offset:         88
        .size:           8
        .value_kind:     global_buffer
      - .actual_access:  write_only
        .address_space:  global
        .offset:         96
        .size:           8
        .value_kind:     global_buffer
    .group_segment_fixed_size: 0
    .kernarg_segment_align: 8
    .kernarg_segment_size: 104
    .language:       OpenCL C
    .language_version:
      - 2
      - 0
    .max_flat_workgroup_size: 110
    .name:           fft_rtc_fwd_len990_factors_2_3_3_5_11_wgs_110_tpt_110_half_op_CI_CI_unitstride_sbrr_R2C_dirReg
    .private_segment_fixed_size: 0
    .sgpr_count:     29
    .sgpr_spill_count: 0
    .symbol:         fft_rtc_fwd_len990_factors_2_3_3_5_11_wgs_110_tpt_110_half_op_CI_CI_unitstride_sbrr_R2C_dirReg.kd
    .uniform_work_group_size: 1
    .uses_dynamic_stack: false
    .vgpr_count:     138
    .vgpr_spill_count: 0
    .wavefront_size: 32
    .workgroup_processor_mode: 1
amdhsa.target:   amdgcn-amd-amdhsa--gfx1030
amdhsa.version:
  - 1
  - 2
...

	.end_amdgpu_metadata
